;; amdgpu-corpus repo=ROCm/rocFFT kind=compiled arch=gfx1030 opt=O3
	.text
	.amdgcn_target "amdgcn-amd-amdhsa--gfx1030"
	.amdhsa_code_object_version 6
	.protected	fft_rtc_back_len78_factors_6_13_wgs_247_tpt_13_sp_ip_CI_unitstride_sbrr_dirReg ; -- Begin function fft_rtc_back_len78_factors_6_13_wgs_247_tpt_13_sp_ip_CI_unitstride_sbrr_dirReg
	.globl	fft_rtc_back_len78_factors_6_13_wgs_247_tpt_13_sp_ip_CI_unitstride_sbrr_dirReg
	.p2align	8
	.type	fft_rtc_back_len78_factors_6_13_wgs_247_tpt_13_sp_ip_CI_unitstride_sbrr_dirReg,@function
fft_rtc_back_len78_factors_6_13_wgs_247_tpt_13_sp_ip_CI_unitstride_sbrr_dirReg: ; @fft_rtc_back_len78_factors_6_13_wgs_247_tpt_13_sp_ip_CI_unitstride_sbrr_dirReg
; %bb.0:
	s_load_dwordx4 s[8:11], s[4:5], 0x0
	v_mul_u32_u24_e32 v1, 0x13b2, v0
	s_clause 0x1
	s_load_dwordx2 s[2:3], s[4:5], 0x50
	s_load_dwordx2 s[12:13], s[4:5], 0x18
	v_mov_b32_e32 v3, 0
	v_mov_b32_e32 v5, 0
	;; [unrolled: 1-line block ×3, first 2 shown]
	v_lshrrev_b32_e32 v1, 16, v1
	v_mad_u64_u32 v[1:2], null, s6, 19, v[1:2]
	v_mov_b32_e32 v2, v3
	v_mov_b32_e32 v10, v2
	;; [unrolled: 1-line block ×3, first 2 shown]
	s_waitcnt lgkmcnt(0)
	v_cmp_lt_u64_e64 s0, s[10:11], 2
	s_and_b32 vcc_lo, exec_lo, s0
	s_cbranch_vccnz .LBB0_8
; %bb.1:
	s_load_dwordx2 s[0:1], s[4:5], 0x10
	v_mov_b32_e32 v5, 0
	v_mov_b32_e32 v8, v2
	s_add_u32 s6, s12, 8
	v_mov_b32_e32 v6, 0
	v_mov_b32_e32 v7, v1
	s_addc_u32 s7, s13, 0
	s_mov_b64 s[16:17], 1
	s_waitcnt lgkmcnt(0)
	s_add_u32 s14, s0, 8
	s_addc_u32 s15, s1, 0
.LBB0_2:                                ; =>This Inner Loop Header: Depth=1
	s_load_dwordx2 s[18:19], s[14:15], 0x0
                                        ; implicit-def: $vgpr9_vgpr10
	s_mov_b32 s0, exec_lo
	s_waitcnt lgkmcnt(0)
	v_or_b32_e32 v4, s19, v8
	v_cmpx_ne_u64_e32 0, v[3:4]
	s_xor_b32 s1, exec_lo, s0
	s_cbranch_execz .LBB0_4
; %bb.3:                                ;   in Loop: Header=BB0_2 Depth=1
	v_cvt_f32_u32_e32 v2, s18
	v_cvt_f32_u32_e32 v4, s19
	s_sub_u32 s0, 0, s18
	s_subb_u32 s20, 0, s19
	v_fmac_f32_e32 v2, 0x4f800000, v4
	v_rcp_f32_e32 v2, v2
	v_mul_f32_e32 v2, 0x5f7ffffc, v2
	v_mul_f32_e32 v4, 0x2f800000, v2
	v_trunc_f32_e32 v4, v4
	v_fmac_f32_e32 v2, 0xcf800000, v4
	v_cvt_u32_f32_e32 v4, v4
	v_cvt_u32_f32_e32 v2, v2
	v_mul_lo_u32 v9, s0, v4
	v_mul_hi_u32 v10, s0, v2
	v_mul_lo_u32 v11, s20, v2
	v_add_nc_u32_e32 v9, v10, v9
	v_mul_lo_u32 v10, s0, v2
	v_add_nc_u32_e32 v9, v9, v11
	v_mul_hi_u32 v11, v2, v10
	v_mul_lo_u32 v12, v2, v9
	v_mul_hi_u32 v13, v2, v9
	v_mul_hi_u32 v14, v4, v10
	v_mul_lo_u32 v10, v4, v10
	v_mul_hi_u32 v15, v4, v9
	v_mul_lo_u32 v9, v4, v9
	v_add_co_u32 v11, vcc_lo, v11, v12
	v_add_co_ci_u32_e32 v12, vcc_lo, 0, v13, vcc_lo
	v_add_co_u32 v10, vcc_lo, v11, v10
	v_add_co_ci_u32_e32 v10, vcc_lo, v12, v14, vcc_lo
	v_add_co_ci_u32_e32 v11, vcc_lo, 0, v15, vcc_lo
	v_add_co_u32 v9, vcc_lo, v10, v9
	v_add_co_ci_u32_e32 v10, vcc_lo, 0, v11, vcc_lo
	v_add_co_u32 v2, vcc_lo, v2, v9
	v_add_co_ci_u32_e32 v4, vcc_lo, v4, v10, vcc_lo
	v_mul_hi_u32 v9, s0, v2
	v_mul_lo_u32 v11, s20, v2
	v_mul_lo_u32 v10, s0, v4
	v_add_nc_u32_e32 v9, v9, v10
	v_mul_lo_u32 v10, s0, v2
	v_add_nc_u32_e32 v9, v9, v11
	v_mul_hi_u32 v11, v2, v10
	v_mul_lo_u32 v12, v2, v9
	v_mul_hi_u32 v13, v2, v9
	v_mul_hi_u32 v14, v4, v10
	v_mul_lo_u32 v10, v4, v10
	v_mul_hi_u32 v15, v4, v9
	v_mul_lo_u32 v9, v4, v9
	v_add_co_u32 v11, vcc_lo, v11, v12
	v_add_co_ci_u32_e32 v12, vcc_lo, 0, v13, vcc_lo
	v_add_co_u32 v10, vcc_lo, v11, v10
	v_add_co_ci_u32_e32 v10, vcc_lo, v12, v14, vcc_lo
	v_add_co_ci_u32_e32 v11, vcc_lo, 0, v15, vcc_lo
	v_add_co_u32 v9, vcc_lo, v10, v9
	v_add_co_ci_u32_e32 v10, vcc_lo, 0, v11, vcc_lo
	v_add_co_u32 v2, vcc_lo, v2, v9
	v_add_co_ci_u32_e32 v4, vcc_lo, v4, v10, vcc_lo
	v_mul_hi_u32 v15, v7, v2
	v_mad_u64_u32 v[11:12], null, v8, v2, 0
	v_mad_u64_u32 v[9:10], null, v7, v4, 0
	v_mad_u64_u32 v[13:14], null, v8, v4, 0
	v_add_co_u32 v2, vcc_lo, v15, v9
	v_add_co_ci_u32_e32 v4, vcc_lo, 0, v10, vcc_lo
	v_add_co_u32 v2, vcc_lo, v2, v11
	v_add_co_ci_u32_e32 v2, vcc_lo, v4, v12, vcc_lo
	v_add_co_ci_u32_e32 v4, vcc_lo, 0, v14, vcc_lo
	v_add_co_u32 v2, vcc_lo, v2, v13
	v_add_co_ci_u32_e32 v4, vcc_lo, 0, v4, vcc_lo
	v_mul_lo_u32 v11, s19, v2
	v_mad_u64_u32 v[9:10], null, s18, v2, 0
	v_mul_lo_u32 v12, s18, v4
	v_sub_co_u32 v9, vcc_lo, v7, v9
	v_add3_u32 v10, v10, v12, v11
	v_sub_nc_u32_e32 v11, v8, v10
	v_subrev_co_ci_u32_e64 v11, s0, s19, v11, vcc_lo
	v_add_co_u32 v12, s0, v2, 2
	v_add_co_ci_u32_e64 v13, s0, 0, v4, s0
	v_sub_co_u32 v14, s0, v9, s18
	v_sub_co_ci_u32_e32 v10, vcc_lo, v8, v10, vcc_lo
	v_subrev_co_ci_u32_e64 v11, s0, 0, v11, s0
	v_cmp_le_u32_e32 vcc_lo, s18, v14
	v_cmp_eq_u32_e64 s0, s19, v10
	v_cndmask_b32_e64 v14, 0, -1, vcc_lo
	v_cmp_le_u32_e32 vcc_lo, s19, v11
	v_cndmask_b32_e64 v15, 0, -1, vcc_lo
	v_cmp_le_u32_e32 vcc_lo, s18, v9
	;; [unrolled: 2-line block ×3, first 2 shown]
	v_cndmask_b32_e64 v16, 0, -1, vcc_lo
	v_cmp_eq_u32_e32 vcc_lo, s19, v11
	v_cndmask_b32_e64 v9, v16, v9, s0
	v_cndmask_b32_e32 v11, v15, v14, vcc_lo
	v_add_co_u32 v14, vcc_lo, v2, 1
	v_add_co_ci_u32_e32 v15, vcc_lo, 0, v4, vcc_lo
	v_cmp_ne_u32_e32 vcc_lo, 0, v11
	v_cndmask_b32_e32 v10, v15, v13, vcc_lo
	v_cndmask_b32_e32 v11, v14, v12, vcc_lo
	v_cmp_ne_u32_e32 vcc_lo, 0, v9
	v_cndmask_b32_e32 v10, v4, v10, vcc_lo
	v_cndmask_b32_e32 v9, v2, v11, vcc_lo
.LBB0_4:                                ;   in Loop: Header=BB0_2 Depth=1
	s_andn2_saveexec_b32 s0, s1
	s_cbranch_execz .LBB0_6
; %bb.5:                                ;   in Loop: Header=BB0_2 Depth=1
	v_cvt_f32_u32_e32 v2, s18
	s_sub_i32 s1, 0, s18
	v_rcp_iflag_f32_e32 v2, v2
	v_mul_f32_e32 v2, 0x4f7ffffe, v2
	v_cvt_u32_f32_e32 v2, v2
	v_mul_lo_u32 v4, s1, v2
	v_mul_hi_u32 v4, v2, v4
	v_add_nc_u32_e32 v2, v2, v4
	v_mul_hi_u32 v2, v7, v2
	v_mul_lo_u32 v4, v2, s18
	v_add_nc_u32_e32 v9, 1, v2
	v_sub_nc_u32_e32 v4, v7, v4
	v_subrev_nc_u32_e32 v10, s18, v4
	v_cmp_le_u32_e32 vcc_lo, s18, v4
	v_cndmask_b32_e32 v4, v4, v10, vcc_lo
	v_cndmask_b32_e32 v2, v2, v9, vcc_lo
	v_mov_b32_e32 v10, v3
	v_cmp_le_u32_e32 vcc_lo, s18, v4
	v_add_nc_u32_e32 v9, 1, v2
	v_cndmask_b32_e32 v9, v2, v9, vcc_lo
.LBB0_6:                                ;   in Loop: Header=BB0_2 Depth=1
	s_or_b32 exec_lo, exec_lo, s0
	s_load_dwordx2 s[0:1], s[6:7], 0x0
	v_mul_lo_u32 v2, v10, s18
	v_mul_lo_u32 v4, v9, s19
	v_mad_u64_u32 v[11:12], null, v9, s18, 0
	s_add_u32 s16, s16, 1
	s_addc_u32 s17, s17, 0
	s_add_u32 s6, s6, 8
	s_addc_u32 s7, s7, 0
	;; [unrolled: 2-line block ×3, first 2 shown]
	v_add3_u32 v2, v12, v4, v2
	v_sub_co_u32 v4, vcc_lo, v7, v11
	v_sub_co_ci_u32_e32 v2, vcc_lo, v8, v2, vcc_lo
	s_waitcnt lgkmcnt(0)
	v_mul_lo_u32 v7, s1, v4
	v_mul_lo_u32 v2, s0, v2
	v_mad_u64_u32 v[5:6], null, s0, v4, v[5:6]
	v_cmp_ge_u64_e64 s0, s[16:17], s[10:11]
	s_and_b32 vcc_lo, exec_lo, s0
	v_add3_u32 v6, v7, v6, v2
	s_cbranch_vccnz .LBB0_8
; %bb.7:                                ;   in Loop: Header=BB0_2 Depth=1
	v_mov_b32_e32 v7, v9
	v_mov_b32_e32 v8, v10
	s_branch .LBB0_2
.LBB0_8:
	s_lshl_b64 s[0:1], s[10:11], 3
                                        ; implicit-def: $vgpr13
                                        ; implicit-def: $vgpr11
	s_add_u32 s0, s12, s0
	s_addc_u32 s1, s13, s1
	s_load_dwordx2 s[0:1], s[0:1], 0x0
	s_load_dwordx2 s[4:5], s[4:5], 0x20
	s_waitcnt lgkmcnt(0)
	v_mul_lo_u32 v4, s0, v10
	v_mul_lo_u32 v7, s1, v9
	v_mad_u64_u32 v[2:3], null, s0, v9, v[5:6]
	v_mul_hi_u32 v5, 0x13b13b14, v0
	v_cmp_gt_u64_e32 vcc_lo, s[4:5], v[9:10]
                                        ; implicit-def: $vgpr9
	v_add3_u32 v3, v7, v3, v4
                                        ; implicit-def: $vgpr7
	v_mul_u32_u24_e32 v4, 13, v5
                                        ; implicit-def: $vgpr5
	v_lshlrev_b64 v[16:17], 3, v[2:3]
                                        ; implicit-def: $vgpr3
	v_sub_nc_u32_e32 v18, v0, v4
	s_and_saveexec_b32 s1, vcc_lo
; %bb.9:
	v_mov_b32_e32 v19, 0
	v_add_co_u32 v0, s0, s2, v16
	v_add_co_ci_u32_e64 v4, s0, s3, v17, s0
	v_lshlrev_b64 v[2:3], 3, v[18:19]
	v_add_co_u32 v8, s0, v0, v2
	v_add_co_ci_u32_e64 v9, s0, v4, v3, s0
	s_clause 0x5
	global_load_dwordx2 v[2:3], v[8:9], off
	global_load_dwordx2 v[4:5], v[8:9], off offset:104
	global_load_dwordx2 v[12:13], v[8:9], off offset:208
	;; [unrolled: 1-line block ×5, first 2 shown]
; %bb.10:
	s_or_b32 exec_lo, exec_lo, s1
	v_mul_hi_u32 v0, 0xaf286bcb, v1
	s_waitcnt vmcnt(0)
	v_sub_f32_e32 v24, v7, v9
	v_add_f32_e32 v25, v5, v7
	v_add_f32_e32 v7, v7, v9
	v_sub_f32_e32 v19, v13, v11
	v_add_f32_e32 v20, v3, v13
	v_add_f32_e32 v13, v13, v11
	;; [unrolled: 1-line block ×3, first 2 shown]
	v_sub_nc_u32_e32 v22, v1, v0
	v_add_f32_e32 v23, v6, v8
	v_sub_f32_e32 v6, v6, v8
	v_fmac_f32_e32 v5, -0.5, v7
	v_add_f32_e32 v14, v2, v12
	v_lshrrev_b32_e32 v22, 1, v22
	v_add_f32_e32 v15, v12, v10
	v_sub_f32_e32 v12, v12, v10
	v_fmac_f32_e32 v3, -0.5, v13
	v_fmac_f32_e32 v4, -0.5, v23
	v_add_nc_u32_e32 v0, v22, v0
	v_fmamk_f32 v13, v6, 0x3f5db3d7, v5
	v_add_f32_e32 v10, v14, v10
	v_fmamk_f32 v14, v12, 0x3f5db3d7, v3
	v_fmac_f32_e32 v3, 0xbf5db3d7, v12
	v_lshrrev_b32_e32 v0, 4, v0
	v_fmamk_f32 v12, v24, 0xbf5db3d7, v4
	v_fmac_f32_e32 v5, 0xbf5db3d7, v6
	v_mul_f32_e32 v6, 0xbf5db3d7, v13
	v_fmac_f32_e32 v2, -0.5, v15
	v_mul_lo_u32 v0, v0, 19
	v_fmac_f32_e32 v4, 0x3f5db3d7, v24
	v_mul_f32_e32 v15, -0.5, v5
	v_fmac_f32_e32 v6, 0.5, v12
	v_mul_f32_e32 v12, 0x3f5db3d7, v12
	v_add_f32_e32 v11, v20, v11
	v_add_f32_e32 v8, v21, v8
	;; [unrolled: 1-line block ×3, first 2 shown]
	v_sub_nc_u32_e32 v0, v1, v0
	v_mul_f32_e32 v1, 0xbf5db3d7, v5
	v_fmamk_f32 v9, v19, 0xbf5db3d7, v2
	v_fmac_f32_e32 v2, 0x3f5db3d7, v19
	v_fmac_f32_e32 v12, 0.5, v13
	v_mul_u32_u24_e32 v5, 0x4e, v0
	v_mul_u32_u24_e32 v0, 6, v18
	v_fmac_f32_e32 v1, -0.5, v4
	v_fmac_f32_e32 v15, 0x3f5db3d7, v4
	v_add_f32_e32 v19, v10, v8
	v_add_f32_e32 v21, v9, v6
	v_lshl_add_u32 v4, v0, 3, 0
	v_add_f32_e32 v25, v2, v1
	v_add_f32_e32 v20, v11, v7
	;; [unrolled: 1-line block ×4, first 2 shown]
	v_sub_f32_e32 v27, v10, v8
	v_sub_f32_e32 v23, v9, v6
	;; [unrolled: 1-line block ×3, first 2 shown]
	v_lshl_add_u32 v2, v5, 3, v4
	v_sub_f32_e32 v28, v11, v7
	v_sub_f32_e32 v24, v14, v12
	;; [unrolled: 1-line block ×3, first 2 shown]
	v_cmp_gt_u32_e64 s0, 6, v18
	ds_write2_b64 v2, v[19:20], v[21:22] offset1:1
	ds_write2_b64 v2, v[25:26], v[27:28] offset0:2 offset1:3
                                        ; implicit-def: $vgpr15
                                        ; implicit-def: $vgpr11
                                        ; implicit-def: $vgpr7
                                        ; implicit-def: $vgpr3
	ds_write2_b64 v2, v[23:24], v[0:1] offset0:4 offset1:5
	s_waitcnt lgkmcnt(0)
	s_barrier
	buffer_gl0_inv
	s_and_saveexec_b32 s1, s0
	s_cbranch_execnz .LBB0_13
; %bb.11:
	s_or_b32 exec_lo, exec_lo, s1
	s_and_b32 s0, vcc_lo, s0
	s_and_saveexec_b32 s1, s0
	s_cbranch_execnz .LBB0_14
.LBB0_12:
	s_endpgm
.LBB0_13:
	v_lshlrev_b32_e32 v5, 3, v5
	v_mul_i32_i24_e32 v0, 0xffffffd8, v18
	v_add3_u32 v12, v4, v0, v5
	v_lshlrev_b32_e32 v4, 3, v18
	ds_read2_b64 v[0:3], v12 offset0:30 offset1:36
	ds_read2_b64 v[21:24], v12 offset0:18 offset1:24
	v_add3_u32 v4, 0, v5, v4
	ds_read2_b64 v[29:32], v12 offset0:6 offset1:12
	ds_read_b64 v[19:20], v4
	ds_read2_b64 v[4:7], v12 offset0:42 offset1:48
	ds_read2_b64 v[8:11], v12 offset0:54 offset1:60
	;; [unrolled: 1-line block ×3, first 2 shown]
	s_waitcnt lgkmcnt(5)
	v_mov_b32_e32 v28, v22
	v_mov_b32_e32 v27, v21
	s_waitcnt lgkmcnt(4)
	v_mov_b32_e32 v26, v32
	v_mov_b32_e32 v25, v31
	v_mov_b32_e32 v22, v30
	v_mov_b32_e32 v21, v29
	s_or_b32 exec_lo, exec_lo, s1
	s_and_b32 s0, vcc_lo, s0
	s_and_saveexec_b32 s1, s0
	s_cbranch_execz .LBB0_12
.LBB0_14:
	v_and_b32_e32 v29, 0xff, v18
	v_mul_lo_u16 v29, 0xab, v29
	v_lshrrev_b16 v29, 10, v29
	v_mul_lo_u16 v29, v29, 6
	v_sub_nc_u16 v29, v18, v29
	v_mul_lo_u16 v29, v29, 12
	v_and_b32_e32 v29, 0xfc, v29
	v_lshlrev_b32_e32 v29, 3, v29
	s_clause 0x5
	global_load_dwordx4 v[41:44], v29, s[8:9] offset:80
	global_load_dwordx4 v[47:50], v29, s[8:9]
	global_load_dwordx4 v[51:54], v29, s[8:9] offset:64
	global_load_dwordx4 v[55:58], v29, s[8:9] offset:16
	;; [unrolled: 1-line block ×4, first 2 shown]
	s_waitcnt vmcnt(5) lgkmcnt(0)
	v_mul_f32_e32 v37, v14, v44
	v_mul_f32_e32 v38, v12, v42
	;; [unrolled: 1-line block ×3, first 2 shown]
	s_waitcnt vmcnt(4)
	v_mul_f32_e32 v42, v21, v48
	v_mul_f32_e32 v29, v15, v44
	;; [unrolled: 1-line block ×5, first 2 shown]
	s_waitcnt vmcnt(3)
	v_mul_f32_e32 v48, v10, v54
	v_mul_f32_e32 v31, v11, v54
	;; [unrolled: 1-line block ×4, first 2 shown]
	v_fma_f32 v15, v15, v43, -v37
	v_fma_f32 v50, v22, v47, -v42
	s_waitcnt vmcnt(2)
	v_mul_f32_e32 v67, v27, v56
	v_mul_f32_e32 v39, v28, v56
	s_waitcnt vmcnt(1)
	v_mul_f32_e32 v52, v6, v62
	v_mul_f32_e32 v33, v7, v62
	v_fmac_f32_e32 v29, v14, v43
	v_fma_f32 v13, v13, v41, -v38
	v_fmac_f32_e32 v46, v21, v47
	v_fma_f32 v47, v26, v49, -v44
	v_fma_f32 v14, v9, v51, -v54
	v_fmac_f32_e32 v32, v8, v51
	v_sub_f32_e32 v51, v50, v15
	v_add_f32_e32 v54, v20, v50
	v_mul_f32_e32 v62, v4, v60
	s_waitcnt vmcnt(0)
	v_mul_f32_e32 v35, v3, v66
	v_fmac_f32_e32 v30, v12, v41
	v_fmac_f32_e32 v45, v25, v49
	v_fma_f32 v44, v28, v55, -v67
	v_fmac_f32_e32 v39, v27, v55
	v_fma_f32 v12, v11, v53, -v48
	v_fma_f32 v21, v7, v61, -v52
	v_fmac_f32_e32 v33, v6, v61
	v_add_f32_e32 v48, v15, v50
	v_add_f32_e32 v49, v13, v47
	;; [unrolled: 1-line block ×3, first 2 shown]
	v_sub_f32_e32 v52, v47, v13
	v_add_f32_e32 v55, v19, v46
	v_mul_f32_e32 v82, 0xbf6f5d39, v51
	v_add_f32_e32 v47, v54, v47
	v_mul_f32_e32 v56, v23, v58
	v_mul_f32_e32 v40, v24, v58
	;; [unrolled: 1-line block ×6, first 2 shown]
	v_fmac_f32_e32 v31, v10, v53
	v_fma_f32 v22, v5, v59, -v62
	v_fmac_f32_e32 v35, v2, v65
	v_sub_f32_e32 v7, v46, v29
	v_sub_f32_e32 v2, v45, v30
	v_add_f32_e32 v41, v12, v44
	v_add_f32_e32 v5, v30, v45
	v_sub_f32_e32 v42, v44, v12
	v_mul_f32_e32 v83, 0x3f29c268, v52
	v_mul_f32_e32 v87, 0x3df6dbef, v48
	v_add_f32_e32 v45, v55, v45
	v_add_f32_e32 v44, v47, v44
	v_fmamk_f32 v47, v6, 0xbeb58ec6, v82
	v_fma_f32 v43, v24, v57, -v56
	v_fma_f32 v28, v1, v63, -v58
	v_fmac_f32_e32 v34, v4, v59
	v_sub_f32_e32 v1, v39, v31
	v_add_f32_e32 v4, v31, v39
	v_mul_f32_e32 v56, 0xbf788fa5, v48
	v_mul_f32_e32 v58, 0xbe750f2a, v51
	;; [unrolled: 1-line block ×5, first 2 shown]
	v_add_f32_e32 v39, v45, v39
	v_fmamk_f32 v45, v5, 0xbf3f9e67, v83
	v_fmamk_f32 v106, v7, 0x3f7e222b, v87
	v_add_f32_e32 v47, v19, v47
	v_fmac_f32_e32 v40, v23, v57
	v_add_f32_e32 v25, v14, v43
	v_sub_f32_e32 v24, v43, v14
	v_mul_f32_e32 v57, 0x3f62ad3f, v49
	v_mul_f32_e32 v61, 0x3eedf032, v52
	;; [unrolled: 1-line block ×7, first 2 shown]
	v_fmamk_f32 v96, v7, 0x3e750f2a, v56
	v_fmamk_f32 v97, v6, 0xbf788fa5, v58
	;; [unrolled: 1-line block ×3, first 2 shown]
	v_add_f32_e32 v43, v44, v43
	v_fmamk_f32 v44, v2, 0x3e750f2a, v88
	v_add_f32_e32 v106, v20, v106
	v_add_f32_e32 v45, v47, v45
	v_fmamk_f32 v47, v7, 0x3eedf032, v50
	v_fmac_f32_e32 v36, v0, v63
	v_fma_f32 v23, v3, v65, -v64
	v_sub_f32_e32 v0, v40, v32
	v_add_f32_e32 v3, v32, v40
	v_mul_f32_e32 v69, 0x3df6dbef, v49
	v_mul_f32_e32 v81, 0xbf3f9e67, v49
	;; [unrolled: 1-line block ×5, first 2 shown]
	v_fmamk_f32 v98, v2, 0xbeedf032, v57
	v_fmamk_f32 v99, v5, 0x3f62ad3f, v61
	;; [unrolled: 1-line block ×5, first 2 shown]
	v_add_f32_e32 v96, v20, v96
	v_add_f32_e32 v39, v39, v40
	v_fmamk_f32 v40, v6, 0x3df6dbef, v89
	v_add_f32_e32 v97, v19, v97
	v_add_f32_e32 v102, v19, v102
	;; [unrolled: 1-line block ×3, first 2 shown]
	v_fmamk_f32 v106, v2, 0x3f52af12, v46
	v_add_f32_e32 v47, v20, v47
	v_fma_f32 v58, 0xbf788fa5, v6, -v58
	v_mul_f32_e32 v59, 0xbf3f9e67, v41
	v_mul_f32_e32 v62, 0xbf29c268, v42
	;; [unrolled: 1-line block ×8, first 2 shown]
	v_fmamk_f32 v101, v2, 0xbf7e222b, v69
	v_fmamk_f32 v105, v2, 0xbf29c268, v81
	v_add_f32_e32 v100, v20, v100
	v_add_f32_e32 v96, v96, v98
	v_fmamk_f32 v98, v5, 0xbf788fa5, v90
	v_add_f32_e32 v97, v97, v99
	v_fmamk_f32 v99, v7, 0x3f52af12, v91
	v_add_f32_e32 v104, v20, v104
	v_add_f32_e32 v102, v102, v103
	v_fmamk_f32 v103, v6, 0x3f116cb1, v93
	v_add_f32_e32 v40, v19, v40
	v_add_f32_e32 v47, v47, v106
	v_mul_f32_e32 v106, 0xbf788fa5, v41
	v_mul_f32_e32 v107, 0x3df6dbef, v41
	v_fma_f32 v41, 0x3f62ad3f, v5, -v61
	v_add_f32_e32 v58, v19, v58
	v_fmac_f32_e32 v80, 0xbf6f5d39, v7
	v_add_f32_e32 v26, v21, v28
	v_sub_f32_e32 v27, v28, v21
	v_mul_f32_e32 v73, 0xbf52af12, v42
	v_mul_f32_e32 v85, 0x3eedf032, v42
	;; [unrolled: 1-line block ×3, first 2 shown]
	v_add_f32_e32 v100, v100, v101
	v_fmamk_f32 v101, v2, 0x3f6f5d39, v92
	v_add_f32_e32 v104, v104, v105
	v_fmamk_f32 v105, v5, 0xbeb58ec6, v53
	v_add_f32_e32 v99, v20, v99
	v_add_f32_e32 v40, v40, v98
	v_fmamk_f32 v98, v6, 0x3f62ad3f, v49
	v_add_f32_e32 v103, v19, v103
	v_add_f32_e32 v41, v58, v41
	v_fma_f32 v58, 0xbf3f9e67, v6, -v70
	v_fma_f32 v70, 0x3df6dbef, v5, -v71
	v_add_f32_e32 v71, v20, v80
	v_fma_f32 v80, 0xbeb58ec6, v6, -v82
	v_fma_f32 v82, 0xbf3f9e67, v5, -v83
	;; [unrolled: 1-line block ×3, first 2 shown]
	v_add_f32_e32 v28, v43, v28
	v_fmamk_f32 v43, v4, 0xbf3f9e67, v62
	v_sub_f32_e32 v8, v36, v33
	v_add_f32_e32 v11, v33, v36
	v_add_f32_e32 v99, v99, v101
	v_fmamk_f32 v101, v5, 0x3f116cb1, v48
	v_add_f32_e32 v98, v19, v98
	v_add_f32_e32 v103, v103, v105
	v_mul_f32_e32 v105, 0x3f6f5d39, v42
	v_fmac_f32_e32 v56, 0xbe750f2a, v7
	v_fmac_f32_e32 v68, 0xbf29c268, v7
	v_fma_f32 v89, 0xbf788fa5, v5, -v90
	v_add_f32_e32 v83, v19, v83
	v_add_f32_e32 v36, v39, v36
	v_fmamk_f32 v39, v1, 0x3f52af12, v72
	v_fmamk_f32 v90, v4, 0x3f116cb1, v73
	v_add_f32_e32 v43, v97, v43
	v_fmamk_f32 v97, v4, 0x3f62ad3f, v85
	v_add_f32_e32 v98, v98, v101
	v_mul_f32_e32 v101, 0xbe750f2a, v42
	v_fmac_f32_e32 v57, 0x3eedf032, v2
	v_add_f32_e32 v56, v20, v56
	v_mul_f32_e32 v61, 0xbf7e222b, v42
	v_fmac_f32_e32 v69, 0x3f7e222b, v2
	v_add_f32_e32 v68, v20, v68
	v_fmac_f32_e32 v87, 0xbf7e222b, v7
	v_add_f32_e32 v83, v83, v89
	v_fmamk_f32 v89, v1, 0x3f29c268, v59
	v_add_f32_e32 v39, v100, v39
	v_add_f32_e32 v90, v102, v90
	v_fmamk_f32 v100, v1, 0xbf6f5d39, v95
	v_fmamk_f32 v102, v4, 0xbeb58ec6, v105
	v_add_f32_e32 v45, v45, v97
	v_fmamk_f32 v97, v1, 0x3e750f2a, v106
	v_sub_f32_e32 v38, v23, v22
	v_mul_f32_e32 v60, 0x3f116cb1, v25
	v_mul_f32_e32 v63, 0x3f52af12, v24
	v_mul_f32_e32 v74, 0xbf788fa5, v25
	v_add_f32_e32 v42, v56, v57
	v_add_f32_e32 v58, v19, v58
	v_fmac_f32_e32 v81, 0x3f29c268, v2
	v_add_f32_e32 v68, v68, v69
	v_add_f32_e32 v80, v19, v80
	v_fmac_f32_e32 v88, 0xbe750f2a, v2
	v_add_f32_e32 v87, v20, v87
	v_add_f32_e32 v89, v96, v89
	v_fmamk_f32 v96, v1, 0xbeedf032, v84
	v_add_f32_e32 v44, v44, v100
	v_fmamk_f32 v100, v4, 0xbf788fa5, v101
	;; [unrolled: 2-line block ×4, first 2 shown]
	v_fmac_f32_e32 v59, 0xbf29c268, v1
	v_fma_f32 v62, 0xbf3f9e67, v4, -v62
	v_fmac_f32_e32 v72, 0xbf52af12, v1
	v_add_f32_e32 v37, v22, v23
	v_mul_f32_e32 v64, 0xbeb58ec6, v26
	v_mul_f32_e32 v65, 0xbf6f5d39, v27
	;; [unrolled: 1-line block ×15, first 2 shown]
	v_add_f32_e32 v58, v58, v70
	v_mul_f32_e32 v70, 0xbf52af12, v27
	v_add_f32_e32 v71, v71, v81
	v_add_f32_e32 v80, v80, v82
	v_mul_f32_e32 v82, 0xbf29c268, v38
	v_add_f32_e32 v87, v87, v88
	v_mul_f32_e32 v88, 0xbf3f9e67, v25
	v_add_f32_e32 v96, v104, v96
	v_add_f32_e32 v100, v103, v100
	v_mul_f32_e32 v103, 0x3f29c268, v24
	v_add_f32_e32 v47, v47, v102
	v_mul_f32_e32 v102, 0x3df6dbef, v26
	v_add_f32_e32 v98, v98, v99
	v_mul_f32_e32 v99, 0x3f7e222b, v27
	v_mul_f32_e32 v104, 0xbeb58ec6, v25
	v_add_f32_e32 v25, v42, v59
	v_mul_f32_e32 v108, 0xbf6f5d39, v24
	v_add_f32_e32 v24, v41, v62
	v_mul_f32_e32 v62, 0x3eedf032, v38
	v_mul_f32_e32 v109, 0xbf3f9e67, v26
	;; [unrolled: 1-line block ×4, first 2 shown]
	v_fma_f32 v26, 0x3f116cb1, v4, -v73
	v_fmac_f32_e32 v84, 0x3eedf032, v1
	v_fma_f32 v27, 0x3f62ad3f, v4, -v85
	v_add_f32_e32 v38, v68, v72
	v_fmamk_f32 v41, v0, 0xbf52af12, v60
	v_fmamk_f32 v42, v3, 0x3f116cb1, v63
	;; [unrolled: 1-line block ×3, first 2 shown]
	v_sub_f32_e32 v10, v35, v34
	v_add_f32_e32 v9, v34, v35
	v_mul_f32_e32 v66, 0x3df6dbef, v37
	v_mul_f32_e32 v78, 0xbeb58ec6, v37
	;; [unrolled: 1-line block ×6, first 2 shown]
	v_fmac_f32_e32 v95, 0x3f6f5d39, v1
	v_fma_f32 v37, 0xbeb58ec6, v4, -v105
	v_add_f32_e32 v26, v58, v26
	v_add_f32_e32 v58, v71, v84
	v_add_f32_e32 v27, v80, v27
	v_fmamk_f32 v73, v0, 0x3f7e222b, v86
	v_fmamk_f32 v80, v3, 0x3df6dbef, v51
	v_add_f32_e32 v23, v28, v23
	v_add_f32_e32 v35, v36, v35
	v_fmamk_f32 v36, v3, 0x3f62ad3f, v57
	v_add_f32_e32 v41, v89, v41
	v_add_f32_e32 v42, v43, v42
	v_fmamk_f32 v43, v3, 0xbf3f9e67, v103
	v_add_f32_e32 v39, v39, v68
	v_fmamk_f32 v68, v0, 0x3f6f5d39, v104
	v_fmac_f32_e32 v60, 0x3f52af12, v0
	v_fmamk_f32 v85, v8, 0x3f6f5d39, v64
	v_fmac_f32_e32 v86, 0xbf7e222b, v0
	v_fma_f32 v51, 0x3df6dbef, v3, -v51
	v_add_f32_e32 v72, v87, v95
	v_add_f32_e32 v37, v83, v37
	v_fmamk_f32 v28, v0, 0xbeedf032, v56
	v_add_f32_e32 v73, v96, v73
	v_fma_f32 v63, 0x3f116cb1, v3, -v63
	v_add_f32_e32 v36, v40, v36
	v_fmac_f32_e32 v56, 0x3eedf032, v0
	v_add_f32_e32 v43, v100, v43
	v_fma_f32 v57, 0x3f62ad3f, v3, -v57
	v_add_f32_e32 v47, v47, v68
	v_add_f32_e32 v25, v25, v60
	v_fmamk_f32 v60, v8, 0xbe750f2a, v52
	v_add_f32_e32 v58, v58, v86
	v_add_f32_e32 v27, v27, v51
	v_fmamk_f32 v51, v11, 0x3f116cb1, v70
	;; [unrolled: 3-line block ×3, first 2 shown]
	v_add_f32_e32 v41, v41, v85
	v_fmamk_f32 v85, v8, 0x3f29c268, v109
	v_fmac_f32_e32 v52, 0x3e750f2a, v8
	v_add_f32_e32 v24, v24, v63
	v_fmamk_f32 v63, v11, 0xbf788fa5, v54
	v_fmamk_f32 v86, v8, 0x3f52af12, v69
	v_add_f32_e32 v56, v72, v56
	v_add_f32_e32 v57, v37, v57
	v_fmamk_f32 v37, v9, 0xbf3f9e67, v82
	v_add_f32_e32 v60, v73, v60
	v_fmamk_f32 v73, v10, 0x3e750f2a, v111
	v_fma_f32 v54, 0xbf788fa5, v11, -v54
	v_fmac_f32_e32 v69, 0xbf52af12, v8
	v_fmac_f32_e32 v91, 0xbf52af12, v7
	v_add_f32_e32 v36, v36, v51
	v_add_f32_e32 v35, v43, v35
	;; [unrolled: 1-line block ×11, first 2 shown]
	v_fmac_f32_e32 v92, 0xbf6f5d39, v2
	v_add_f32_e32 v43, v20, v91
	v_add_f32_e32 v32, v32, v69
	v_fmac_f32_e32 v106, 0xbe750f2a, v1
	v_add_f32_e32 v12, v12, v14
	v_fmamk_f32 v83, v0, 0xbf29c268, v88
	v_add_f32_e32 v43, v43, v92
	v_add_f32_e32 v31, v31, v32
	v_fmac_f32_e32 v88, 0x3f29c268, v0
	v_add_f32_e32 v12, v13, v12
	v_fmamk_f32 v23, v8, 0xbf7e222b, v102
	v_add_f32_e32 v32, v43, v106
	v_fma_f32 v43, 0x3f116cb1, v6, -v93
	v_fma_f32 v6, 0x3f62ad3f, v6, -v49
	v_add_f32_e32 v31, v30, v31
	v_add_f32_e32 v30, v15, v12
	v_add_f32_e32 v12, v32, v88
	v_fmac_f32_e32 v102, 0x3f7e222b, v8
	v_add_f32_e32 v15, v19, v43
	v_fma_f32 v32, 0xbeb58ec6, v5, -v53
	v_fmac_f32_e32 v50, 0xbeedf032, v7
	v_fmac_f32_e32 v46, 0xbf52af12, v2
	v_add_f32_e32 v2, v19, v6
	v_fma_f32 v5, 0x3f116cb1, v5, -v48
	v_add_f32_e32 v7, v12, v102
	v_add_f32_e32 v12, v15, v32
	v_fma_f32 v15, 0xbf788fa5, v4, -v101
	v_add_f32_e32 v20, v20, v50
	v_fmac_f32_e32 v107, 0xbf7e222b, v1
	v_add_f32_e32 v1, v2, v5
	v_fma_f32 v2, 0x3df6dbef, v4, -v61
	v_add_f32_e32 v6, v12, v15
	v_fma_f32 v12, 0xbf3f9e67, v3, -v103
	v_add_f32_e32 v15, v20, v46
	v_fmac_f32_e32 v74, 0x3e750f2a, v0
	v_fmac_f32_e32 v104, 0xbf6f5d39, v0
	v_add_f32_e32 v0, v1, v2
	v_fma_f32 v1, 0xbeb58ec6, v3, -v108
	v_add_f32_e32 v4, v6, v12
	v_add_f32_e32 v6, v15, v107
	v_fmamk_f32 v71, v3, 0xbf788fa5, v75
	v_fmamk_f32 v84, v3, 0xbeb58ec6, v108
	v_add_f32_e32 v45, v45, v80
	v_fmamk_f32 v80, v11, 0xbeb58ec6, v65
	v_add_f32_e32 v0, v0, v1
	v_fma_f32 v1, 0xbf3f9e67, v11, -v110
	v_mov_b32_e32 v19, 0
	v_fma_f32 v75, 0xbf788fa5, v3, -v75
	v_fma_f32 v5, 0x3df6dbef, v11, -v99
	v_add_f32_e32 v3, v6, v104
	v_fmac_f32_e32 v109, 0xbf29c268, v8
	v_add_f32_e32 v71, v90, v71
	v_fmamk_f32 v89, v11, 0x3f62ad3f, v77
	v_add_f32_e32 v84, v98, v84
	v_add_f32_e32 v42, v42, v80
	v_fmamk_f32 v80, v11, 0xbf3f9e67, v110
	v_add_f32_e32 v83, v97, v83
	v_fmamk_f32 v87, v8, 0xbeedf032, v76
	v_add_f32_e32 v6, v0, v1
	v_lshlrev_b64 v[0:1], 3, v[18:19]
	v_add_f32_e32 v28, v44, v28
	v_add_f32_e32 v2, v4, v5
	;; [unrolled: 1-line block ×3, first 2 shown]
	v_add_co_u32 v3, vcc_lo, s2, v16
	v_fmamk_f32 v44, v10, 0xbf7e222b, v66
	v_add_f32_e32 v38, v38, v74
	v_add_f32_e32 v26, v26, v75
	v_fmamk_f32 v75, v9, 0x3f116cb1, v94
	v_fmac_f32_e32 v64, 0xbf6f5d39, v8
	v_add_f32_e32 v45, v45, v63
	v_fma_f32 v65, 0xbeb58ec6, v11, -v65
	v_fmac_f32_e32 v76, 0x3eedf032, v8
	v_fma_f32 v77, 0x3f62ad3f, v11, -v77
	v_fma_f32 v70, 0x3f116cb1, v11, -v70
	v_add_co_ci_u32_e32 v8, vcc_lo, s3, v17, vcc_lo
	v_add_f32_e32 v71, v71, v89
	v_fmamk_f32 v89, v9, 0x3f62ad3f, v62
	v_fmamk_f32 v63, v9, 0xbf788fa5, v112
	v_add_f32_e32 v47, v84, v80
	v_add_f32_e32 v39, v39, v87
	v_fmamk_f32 v87, v10, 0xbeedf032, v59
	v_add_f32_e32 v51, v83, v23
	v_fmamk_f32 v72, v10, 0x3f29c268, v81
	v_add_f32_e32 v28, v28, v86
	v_add_co_u32 v0, vcc_lo, v3, v0
	v_fmamk_f32 v74, v10, 0xbf52af12, v55
	v_fmamk_f32 v40, v9, 0x3df6dbef, v67
	;; [unrolled: 1-line block ×4, first 2 shown]
	v_fmac_f32_e32 v66, 0x3f7e222b, v10
	v_fma_f32 v67, 0x3df6dbef, v9, -v67
	v_fmac_f32_e32 v78, 0xbf6f5d39, v10
	v_fma_f32 v79, 0xbeb58ec6, v9, -v79
	;; [unrolled: 2-line block ×3, first 2 shown]
	v_add_f32_e32 v64, v25, v64
	v_add_f32_e32 v65, v24, v65
	;; [unrolled: 1-line block ×7, first 2 shown]
	v_fmac_f32_e32 v81, 0xbf29c268, v10
	v_fma_f32 v45, 0xbf3f9e67, v9, -v82
	v_add_f32_e32 v29, v29, v31
	v_fmac_f32_e32 v59, 0x3eedf032, v10
	v_fma_f32 v4, 0x3f62ad3f, v9, -v62
	v_fmac_f32_e32 v111, 0xbe750f2a, v10
	v_fma_f32 v9, 0xbf788fa5, v9, -v112
	v_add_co_ci_u32_e32 v1, vcc_lo, v8, v1, vcc_lo
	v_add_f32_e32 v33, v35, v89
	v_add_f32_e32 v35, v47, v63
	;; [unrolled: 1-line block ×20, first 2 shown]
	global_store_dwordx2 v[0:1], v[29:30], off
	global_store_dwordx2 v[0:1], v[35:36], off offset:48
	global_store_dwordx2 v[0:1], v[33:34], off offset:96
	;; [unrolled: 1-line block ×12, first 2 shown]
	s_endpgm
	.section	.rodata,"a",@progbits
	.p2align	6, 0x0
	.amdhsa_kernel fft_rtc_back_len78_factors_6_13_wgs_247_tpt_13_sp_ip_CI_unitstride_sbrr_dirReg
		.amdhsa_group_segment_fixed_size 0
		.amdhsa_private_segment_fixed_size 0
		.amdhsa_kernarg_size 88
		.amdhsa_user_sgpr_count 6
		.amdhsa_user_sgpr_private_segment_buffer 1
		.amdhsa_user_sgpr_dispatch_ptr 0
		.amdhsa_user_sgpr_queue_ptr 0
		.amdhsa_user_sgpr_kernarg_segment_ptr 1
		.amdhsa_user_sgpr_dispatch_id 0
		.amdhsa_user_sgpr_flat_scratch_init 0
		.amdhsa_user_sgpr_private_segment_size 0
		.amdhsa_wavefront_size32 1
		.amdhsa_uses_dynamic_stack 0
		.amdhsa_system_sgpr_private_segment_wavefront_offset 0
		.amdhsa_system_sgpr_workgroup_id_x 1
		.amdhsa_system_sgpr_workgroup_id_y 0
		.amdhsa_system_sgpr_workgroup_id_z 0
		.amdhsa_system_sgpr_workgroup_info 0
		.amdhsa_system_vgpr_workitem_id 0
		.amdhsa_next_free_vgpr 113
		.amdhsa_next_free_sgpr 21
		.amdhsa_reserve_vcc 1
		.amdhsa_reserve_flat_scratch 0
		.amdhsa_float_round_mode_32 0
		.amdhsa_float_round_mode_16_64 0
		.amdhsa_float_denorm_mode_32 3
		.amdhsa_float_denorm_mode_16_64 3
		.amdhsa_dx10_clamp 1
		.amdhsa_ieee_mode 1
		.amdhsa_fp16_overflow 0
		.amdhsa_workgroup_processor_mode 1
		.amdhsa_memory_ordered 1
		.amdhsa_forward_progress 0
		.amdhsa_shared_vgpr_count 0
		.amdhsa_exception_fp_ieee_invalid_op 0
		.amdhsa_exception_fp_denorm_src 0
		.amdhsa_exception_fp_ieee_div_zero 0
		.amdhsa_exception_fp_ieee_overflow 0
		.amdhsa_exception_fp_ieee_underflow 0
		.amdhsa_exception_fp_ieee_inexact 0
		.amdhsa_exception_int_div_zero 0
	.end_amdhsa_kernel
	.text
.Lfunc_end0:
	.size	fft_rtc_back_len78_factors_6_13_wgs_247_tpt_13_sp_ip_CI_unitstride_sbrr_dirReg, .Lfunc_end0-fft_rtc_back_len78_factors_6_13_wgs_247_tpt_13_sp_ip_CI_unitstride_sbrr_dirReg
                                        ; -- End function
	.section	.AMDGPU.csdata,"",@progbits
; Kernel info:
; codeLenInByte = 4940
; NumSgprs: 23
; NumVgprs: 113
; ScratchSize: 0
; MemoryBound: 0
; FloatMode: 240
; IeeeMode: 1
; LDSByteSize: 0 bytes/workgroup (compile time only)
; SGPRBlocks: 2
; VGPRBlocks: 14
; NumSGPRsForWavesPerEU: 23
; NumVGPRsForWavesPerEU: 113
; Occupancy: 8
; WaveLimiterHint : 1
; COMPUTE_PGM_RSRC2:SCRATCH_EN: 0
; COMPUTE_PGM_RSRC2:USER_SGPR: 6
; COMPUTE_PGM_RSRC2:TRAP_HANDLER: 0
; COMPUTE_PGM_RSRC2:TGID_X_EN: 1
; COMPUTE_PGM_RSRC2:TGID_Y_EN: 0
; COMPUTE_PGM_RSRC2:TGID_Z_EN: 0
; COMPUTE_PGM_RSRC2:TIDIG_COMP_CNT: 0
	.text
	.p2alignl 6, 3214868480
	.fill 48, 4, 3214868480
	.type	__hip_cuid_72fa4f2f3ea59d5f,@object ; @__hip_cuid_72fa4f2f3ea59d5f
	.section	.bss,"aw",@nobits
	.globl	__hip_cuid_72fa4f2f3ea59d5f
__hip_cuid_72fa4f2f3ea59d5f:
	.byte	0                               ; 0x0
	.size	__hip_cuid_72fa4f2f3ea59d5f, 1

	.ident	"AMD clang version 19.0.0git (https://github.com/RadeonOpenCompute/llvm-project roc-6.4.0 25133 c7fe45cf4b819c5991fe208aaa96edf142730f1d)"
	.section	".note.GNU-stack","",@progbits
	.addrsig
	.addrsig_sym __hip_cuid_72fa4f2f3ea59d5f
	.amdgpu_metadata
---
amdhsa.kernels:
  - .args:
      - .actual_access:  read_only
        .address_space:  global
        .offset:         0
        .size:           8
        .value_kind:     global_buffer
      - .offset:         8
        .size:           8
        .value_kind:     by_value
      - .actual_access:  read_only
        .address_space:  global
        .offset:         16
        .size:           8
        .value_kind:     global_buffer
      - .actual_access:  read_only
        .address_space:  global
        .offset:         24
        .size:           8
        .value_kind:     global_buffer
      - .offset:         32
        .size:           8
        .value_kind:     by_value
      - .actual_access:  read_only
        .address_space:  global
        .offset:         40
        .size:           8
        .value_kind:     global_buffer
      - .actual_access:  read_only
        .address_space:  global
        .offset:         48
        .size:           8
        .value_kind:     global_buffer
      - .offset:         56
        .size:           4
        .value_kind:     by_value
      - .actual_access:  read_only
        .address_space:  global
        .offset:         64
        .size:           8
        .value_kind:     global_buffer
      - .actual_access:  read_only
        .address_space:  global
        .offset:         72
        .size:           8
        .value_kind:     global_buffer
      - .address_space:  global
        .offset:         80
        .size:           8
        .value_kind:     global_buffer
    .group_segment_fixed_size: 0
    .kernarg_segment_align: 8
    .kernarg_segment_size: 88
    .language:       OpenCL C
    .language_version:
      - 2
      - 0
    .max_flat_workgroup_size: 247
    .name:           fft_rtc_back_len78_factors_6_13_wgs_247_tpt_13_sp_ip_CI_unitstride_sbrr_dirReg
    .private_segment_fixed_size: 0
    .sgpr_count:     23
    .sgpr_spill_count: 0
    .symbol:         fft_rtc_back_len78_factors_6_13_wgs_247_tpt_13_sp_ip_CI_unitstride_sbrr_dirReg.kd
    .uniform_work_group_size: 1
    .uses_dynamic_stack: false
    .vgpr_count:     113
    .vgpr_spill_count: 0
    .wavefront_size: 32
    .workgroup_processor_mode: 1
amdhsa.target:   amdgcn-amd-amdhsa--gfx1030
amdhsa.version:
  - 1
  - 2
...

	.end_amdgpu_metadata
